;; amdgpu-corpus repo=ROCm/rocFFT kind=compiled arch=gfx950 opt=O3
	.text
	.amdgcn_target "amdgcn-amd-amdhsa--gfx950"
	.amdhsa_code_object_version 6
	.protected	bluestein_single_back_len441_dim1_sp_op_CI_CI ; -- Begin function bluestein_single_back_len441_dim1_sp_op_CI_CI
	.globl	bluestein_single_back_len441_dim1_sp_op_CI_CI
	.p2align	8
	.type	bluestein_single_back_len441_dim1_sp_op_CI_CI,@function
bluestein_single_back_len441_dim1_sp_op_CI_CI: ; @bluestein_single_back_len441_dim1_sp_op_CI_CI
; %bb.0:
	s_load_dwordx4 s[8:11], s[0:1], 0x28
	v_mul_u32_u24_e32 v1, 0x411, v0
	v_add_u32_sdwa v40, s2, v1 dst_sel:DWORD dst_unused:UNUSED_PAD src0_sel:DWORD src1_sel:WORD_1
	v_mov_b32_e32 v41, 0
	s_waitcnt lgkmcnt(0)
	v_cmp_gt_u64_e32 vcc, s[8:9], v[40:41]
	s_and_saveexec_b64 s[2:3], vcc
	s_cbranch_execz .LBB0_15
; %bb.1:
	s_load_dwordx2 s[8:9], s[0:1], 0x0
	s_load_dwordx2 s[12:13], s[0:1], 0x38
	v_mov_b32_e32 v2, 63
	v_mul_lo_u16_sdwa v1, v1, v2 dst_sel:DWORD dst_unused:UNUSED_PAD src0_sel:WORD_1 src1_sel:DWORD
	v_sub_u16_e32 v44, v0, v1
	v_cmp_gt_u16_e32 vcc, 49, v44
	v_lshlrev_b32_e32 v41, 3, v44
	s_and_saveexec_b64 s[2:3], vcc
	s_cbranch_execz .LBB0_3
; %bb.2:
	s_load_dwordx2 s[4:5], s[0:1], 0x18
	v_mov_b32_e32 v0, s10
	v_mov_b32_e32 v1, s11
	;; [unrolled: 1-line block ×3, first 2 shown]
	v_add_u32_e32 v38, 0x800, v41
	s_waitcnt lgkmcnt(0)
	s_load_dwordx4 s[4:7], s[4:5], 0x0
	s_waitcnt lgkmcnt(0)
	v_mad_u64_u32 v[2:3], s[10:11], s6, v40, 0
	v_mad_u64_u32 v[4:5], s[10:11], s4, v44, 0
	v_mov_b32_e32 v6, v3
	v_mov_b32_e32 v8, v5
	v_mad_u64_u32 v[6:7], s[6:7], s7, v40, v[6:7]
	v_mov_b32_e32 v3, v6
	v_mad_u64_u32 v[6:7], s[6:7], s5, v44, v[8:9]
	v_mov_b32_e32 v5, v6
	v_lshl_add_u64 v[0:1], v[2:3], 3, v[0:1]
	v_lshl_add_u64 v[0:1], v[4:5], 3, v[0:1]
	global_load_dwordx2 v[2:3], v[0:1], off
	v_mad_u64_u32 v[0:1], s[6:7], s4, v34, v[0:1]
	s_mul_i32 s10, s5, 0x188
	v_add_u32_e32 v1, s10, v1
	v_mad_u64_u32 v[8:9], s[6:7], s4, v34, v[0:1]
	v_add_u32_e32 v9, s10, v9
	global_load_dwordx2 v[4:5], v41, s[8:9]
	global_load_dwordx2 v[6:7], v41, s[8:9] offset:392
	global_load_dwordx2 v[10:11], v[0:1], off
	global_load_dwordx2 v[12:13], v[8:9], off
	v_mad_u64_u32 v[0:1], s[6:7], s4, v34, v[8:9]
	v_add_u32_e32 v1, s10, v1
	v_mad_u64_u32 v[16:17], s[6:7], s4, v34, v[0:1]
	v_add_u32_e32 v17, s10, v17
	global_load_dwordx2 v[8:9], v41, s[8:9] offset:784
	global_load_dwordx2 v[14:15], v41, s[8:9] offset:1176
	global_load_dwordx2 v[18:19], v[16:17], off
	v_mad_u64_u32 v[16:17], s[6:7], s4, v34, v[16:17]
	global_load_dwordx2 v[0:1], v[0:1], off
	v_add_u32_e32 v17, s10, v17
	global_load_dwordx2 v[20:21], v41, s[8:9] offset:1568
	global_load_dwordx2 v[22:23], v[16:17], off
	global_load_dwordx2 v[24:25], v41, s[8:9] offset:1960
	v_mad_u64_u32 v[16:17], s[6:7], s4, v34, v[16:17]
	v_add_u32_e32 v17, s10, v17
	global_load_dwordx2 v[26:27], v[16:17], off
	global_load_dwordx2 v[28:29], v41, s[8:9] offset:2352
	v_mad_u64_u32 v[16:17], s[6:7], s4, v34, v[16:17]
	v_add_u32_e32 v17, s10, v17
	;; [unrolled: 4-line block ×3, first 2 shown]
	global_load_dwordx2 v[34:35], v41, s[8:9] offset:3136
	global_load_dwordx2 v[36:37], v[16:17], off
	s_waitcnt vmcnt(16)
	v_mul_f32_e32 v16, v3, v5
	v_mul_f32_e32 v5, v2, v5
	v_fmac_f32_e32 v16, v2, v4
	v_fma_f32 v17, v3, v4, -v5
	s_waitcnt vmcnt(14)
	v_mul_f32_e32 v2, v11, v7
	v_mul_f32_e32 v3, v10, v7
	v_fmac_f32_e32 v2, v10, v6
	v_fma_f32 v3, v11, v6, -v3
	ds_write2_b64 v41, v[16:17], v[2:3] offset1:49
	s_waitcnt vmcnt(12)
	v_mul_f32_e32 v2, v13, v9
	v_mul_f32_e32 v3, v12, v9
	v_fmac_f32_e32 v2, v12, v8
	v_fma_f32 v3, v13, v8, -v3
	s_waitcnt vmcnt(9)
	v_mul_f32_e32 v4, v1, v15
	v_mul_f32_e32 v5, v0, v15
	v_fmac_f32_e32 v4, v0, v14
	v_fma_f32 v5, v1, v14, -v5
	ds_write2_b64 v41, v[2:3], v[4:5] offset0:98 offset1:147
	s_waitcnt vmcnt(8)
	v_mul_f32_e32 v0, v19, v21
	v_mul_f32_e32 v1, v18, v21
	s_waitcnt vmcnt(6)
	v_mul_f32_e32 v2, v23, v25
	v_mul_f32_e32 v3, v22, v25
	v_fmac_f32_e32 v0, v18, v20
	v_fma_f32 v1, v19, v20, -v1
	v_fmac_f32_e32 v2, v22, v24
	v_fma_f32 v3, v23, v24, -v3
	ds_write2_b64 v41, v[0:1], v[2:3] offset0:196 offset1:245
	s_waitcnt vmcnt(4)
	v_mul_f32_e32 v0, v27, v29
	v_mul_f32_e32 v1, v26, v29
	s_waitcnt vmcnt(2)
	v_mul_f32_e32 v2, v31, v33
	v_mul_f32_e32 v3, v30, v33
	v_fmac_f32_e32 v0, v26, v28
	v_fma_f32 v1, v27, v28, -v1
	v_fmac_f32_e32 v2, v30, v32
	v_fma_f32 v3, v31, v32, -v3
	ds_write2_b64 v38, v[0:1], v[2:3] offset0:38 offset1:87
	s_waitcnt vmcnt(0)
	v_mul_f32_e32 v0, v37, v35
	v_mul_f32_e32 v1, v36, v35
	v_fmac_f32_e32 v0, v36, v34
	v_fma_f32 v1, v37, v34, -v1
	ds_write_b64 v41, v[0:1] offset:3136
.LBB0_3:
	s_or_b64 exec, exec, s[2:3]
	s_load_dwordx2 s[2:3], s[0:1], 0x20
	s_load_dwordx2 s[4:5], s[0:1], 0x8
	v_mov_b64_e32 v[2:3], 0
	v_mov_b64_e32 v[8:9], v[2:3]
	;; [unrolled: 1-line block ×4, first 2 shown]
	s_waitcnt lgkmcnt(0)
	; wave barrier
	s_waitcnt lgkmcnt(0)
                                        ; implicit-def: $vgpr22
                                        ; implicit-def: $vgpr12
	s_and_saveexec_b64 s[0:1], vcc
	s_cbranch_execz .LBB0_5
; %bb.4:
	ds_read2_b64 v[0:3], v41 offset1:49
	ds_read2_b64 v[8:11], v41 offset0:98 offset1:147
	ds_read2_b64 v[4:7], v41 offset0:196 offset1:245
	v_add_u32_e32 v12, 0x800, v41
	ds_read2_b64 v[12:15], v12 offset0:38 offset1:87
	ds_read_b64 v[22:23], v41 offset:3136
.LBB0_5:
	s_or_b64 exec, exec, s[0:1]
	s_waitcnt lgkmcnt(0)
	v_pk_add_f32 v[18:19], v[14:15], v[8:9]
	v_pk_add_f32 v[8:9], v[8:9], v[14:15] neg_lo:[0,1] neg_hi:[0,1]
	v_pk_add_f32 v[16:17], v[22:23], v[2:3]
	v_pk_add_f32 v[2:3], v[2:3], v[22:23] neg_lo:[0,1] neg_hi:[0,1]
	v_pk_add_f32 v[24:25], v[10:11], v[12:13] neg_lo:[0,1] neg_hi:[0,1]
	s_mov_b32 s10, 0x3f5db3d7
	v_mul_f32_e32 v23, 0x3f7c1c5c, v8
	v_mul_f32_e32 v22, 0x3f7c1c5c, v9
	v_mov_b32_e32 v26, v0
	v_mov_b32_e32 v27, v1
	v_pk_add_f32 v[20:21], v[12:13], v[10:11]
	v_pk_mul_f32 v[10:11], v[24:25], s[10:11] op_sel_hi:[1,0]
	v_fmac_f32_e32 v23, 0x3f248dbb, v2
	v_fmac_f32_e32 v22, 0x3f248dbb, v3
	v_pk_add_f32 v[12:13], v[4:5], v[6:7] neg_lo:[0,1] neg_hi:[0,1]
	v_fmac_f32_e32 v26, 0x3f441b7d, v16
	v_fmac_f32_e32 v27, 0x3f441b7d, v17
	s_mov_b32 s14, 0x3eaf1d44
	v_fmac_f32_e32 v26, 0x3e31d0d4, v18
	v_fmac_f32_e32 v27, 0x3e31d0d4, v19
	v_pk_add_f32 v[22:23], v[22:23], v[10:11] op_sel:[0,1] op_sel_hi:[1,0]
	v_pk_mul_f32 v[28:29], v[12:13], s[14:15] op_sel_hi:[1,0]
	v_pk_add_f32 v[14:15], v[6:7], v[4:5]
	v_pk_add_f32 v[28:29], v[22:23], v[28:29] op_sel:[0,1] op_sel_hi:[1,0]
	v_pk_fma_f32 v[22:23], v[20:21], 0.5, v[26:27] op_sel_hi:[1,0,1] neg_lo:[1,0,0] neg_hi:[1,0,0]
	s_mov_b32 s20, 0x3f708fb2
	v_pk_fma_f32 v[26:27], v[14:15], s[20:21], v[22:23] op_sel_hi:[1,0,1] neg_lo:[1,0,0] neg_hi:[1,0,0]
	s_mov_b32 s18, 0xbf248dbb
	v_pk_add_f32 v[22:23], v[26:27], v[28:29]
	v_pk_add_f32 v[26:27], v[26:27], v[28:29] neg_lo:[0,1] neg_hi:[0,1]
	v_pk_fma_f32 v[42:43], v[28:29], 2.0, v[22:23] op_sel_hi:[1,0,1] neg_lo:[1,0,0] neg_hi:[1,0,0]
	v_pk_fma_f32 v[28:29], v[28:29], 2.0, v[26:27] op_sel_hi:[1,0,1]
	s_mov_b32 s16, 0x3f7c1c5c
	v_mov_b32_e32 v43, v29
	v_pk_mul_f32 v[28:29], v[12:13], s[18:19] op_sel_hi:[1,0]
	s_mov_b32 s0, 0x3f441b7d
	v_pk_fma_f32 v[28:29], v[2:3], s[16:17], v[28:29] op_sel_hi:[1,0,1]
	s_mov_b32 s6, 0x3e31d0d4
	v_pk_fma_f32 v[24:25], v[24:25], s[10:11], v[28:29] op_sel_hi:[1,0,1] neg_lo:[1,0,0] neg_hi:[1,0,0]
	v_mul_lo_u16_e32 v46, 9, v44
	v_pk_fma_f32 v[28:29], v[8:9], s[14:15], v[24:25] op_sel_hi:[1,0,1]
	v_pk_fma_f32 v[24:25], v[14:15], s[0:1], v[0:1] op_sel_hi:[1,0,1]
	v_add_f32_e32 v34, v29, v29
	v_pk_fma_f32 v[24:25], v[16:17], s[6:7], v[24:25] op_sel_hi:[1,0,1]
	s_nop 0
	v_pk_fma_f32 v[24:25], v[20:21], 0.5, v[24:25] op_sel_hi:[1,0,1] neg_lo:[1,0,0] neg_hi:[1,0,0]
	; wave barrier
	s_nop 0
	v_pk_fma_f32 v[24:25], v[18:19], s[20:21], v[24:25] op_sel_hi:[1,0,1] neg_lo:[1,0,0] neg_hi:[1,0,0]
	s_nop 0
	v_pk_add_f32 v[30:31], v[24:25], v[28:29] op_sel:[0,1] op_sel_hi:[1,0]
	v_pk_add_f32 v[32:33], v[24:25], v[28:29] op_sel:[0,1] op_sel_hi:[1,0] neg_lo:[0,1] neg_hi:[0,1]
	v_add_f32_e32 v29, v28, v28
	v_mov_b32_e32 v28, v30
	v_mov_b32_e32 v35, v33
	v_pk_add_f32 v[34:35], v[30:31], v[34:35] neg_lo:[0,1] neg_hi:[0,1]
	v_pk_add_f32 v[28:29], v[28:29], v[32:33]
	v_mov_b32_e32 v24, v30
	v_mov_b32_e32 v25, v33
	;; [unrolled: 1-line block ×3, first 2 shown]
	s_and_saveexec_b64 s[16:17], vcc
	s_cbranch_execz .LBB0_7
; %bb.6:
	v_mov_b32_e32 v23, v27
	v_pk_add_f32 v[26:27], v[16:17], v[18:19]
	v_lshlrev_b32_e32 v32, 3, v46
	v_pk_add_f32 v[30:31], v[26:27], v[20:21]
	v_pk_mul_f32 v[28:29], v[20:21], 0.5 op_sel_hi:[1,0]
	v_pk_add_f32 v[4:5], v[30:31], v[4:5]
	s_nop 0
	v_pk_add_f32 v[4:5], v[6:7], v[4:5]
	v_pk_add_f32 v[6:7], v[0:1], v[20:21]
	v_pk_add_f32 v[4:5], v[0:1], v[4:5]
	ds_write2_b64 v32, v[4:5], v[22:23] offset1:1
	v_pk_add_f32 v[4:5], v[2:3], v[12:13]
	v_pk_add_f32 v[20:21], v[26:27], v[14:15]
	v_pk_add_f32 v[4:5], v[4:5], v[8:9] neg_lo:[0,1] neg_hi:[0,1]
	v_pk_fma_f32 v[6:7], -0.5, v[20:21], v[6:7] op_sel_hi:[0,1,1]
	v_pk_mul_f32 v[4:5], v[4:5], s[10:11] op_sel_hi:[1,0]
	s_mov_b32 s10, 0xbf7c1c5c
	v_pk_add_f32 v[20:21], v[6:7], v[4:5] op_sel:[0,1] op_sel_hi:[1,0]
	v_pk_add_f32 v[6:7], v[6:7], v[4:5] op_sel:[0,1] op_sel_hi:[1,0] neg_lo:[0,1] neg_hi:[0,1]
	v_pk_fma_f32 v[0:1], v[18:19], s[0:1], v[0:1] op_sel_hi:[1,0,1]
	v_mov_b32_e32 v6, v20
	v_mov_b32_e32 v21, v7
	ds_write2_b64 v32, v[24:25], v[6:7] offset0:2 offset1:3
	v_pk_mul_f32 v[6:7], v[12:13], s[10:11] op_sel_hi:[1,0]
	v_pk_fma_f32 v[0:1], v[14:15], s[6:7], v[0:1] op_sel_hi:[1,0,1]
	v_pk_fma_f32 v[6:7], v[8:9], s[18:19], v[6:7] op_sel_hi:[1,0,1]
	v_pk_add_f32 v[0:1], v[0:1], v[28:29] neg_lo:[0,1] neg_hi:[0,1]
	v_pk_add_f32 v[6:7], v[10:11], v[6:7]
	s_mov_b32 s0, 0xbf708fb2
	v_pk_fma_f32 v[2:3], v[2:3], s[14:15], v[6:7] op_sel_hi:[1,0,1]
	v_pk_fma_f32 v[0:1], v[16:17], s[0:1], v[0:1] op_sel_hi:[1,0,1]
	v_pk_fma_f32 v[8:9], v[4:5], 2.0, v[20:21] op_sel:[1,0,0] op_sel_hi:[0,0,1] neg_lo:[1,0,0] neg_hi:[1,0,0]
	v_pk_add_f32 v[6:7], v[0:1], v[2:3] op_sel:[0,1] op_sel_hi:[1,0]
	v_pk_add_f32 v[0:1], v[0:1], v[2:3] op_sel:[0,1] op_sel_hi:[1,0] neg_lo:[0,1] neg_hi:[0,1]
	v_pk_fma_f32 v[4:5], v[4:5], 2.0, v[20:21] op_sel:[1,0,0] op_sel_hi:[0,0,1]
	v_mov_b32_e32 v7, v1
	v_pk_fma_f32 v[0:1], v[2:3], 2.0, v[6:7] op_sel:[1,0,0] op_sel_hi:[0,0,1] neg_lo:[1,0,0] neg_hi:[1,0,0]
	v_pk_fma_f32 v[2:3], v[2:3], 2.0, v[6:7] op_sel:[1,0,0] op_sel_hi:[0,0,1]
	v_mov_b32_e32 v1, v3
	v_mov_b32_e32 v9, v5
	ds_write_b64 v32, v[6:7] offset:32
	ds_write2_b64 v32, v[0:1], v[8:9] offset0:5 offset1:6
	ds_write2_b64 v32, v[34:35], v[42:43] offset0:7 offset1:8
.LBB0_7:
	s_or_b64 exec, exec, s[16:17]
	v_mov_b32_e32 v0, 57
	v_mul_lo_u16_sdwa v0, v44, v0 dst_sel:DWORD dst_unused:UNUSED_PAD src0_sel:BYTE_0 src1_sel:DWORD
	v_lshrrev_b16_e32 v26, 9, v0
	v_mul_lo_u16_e32 v0, 9, v26
	v_sub_u16_e32 v0, v44, v0
	v_and_b32_e32 v27, 0xff, v0
	v_mul_u32_u24_e32 v0, 6, v27
	v_lshlrev_b32_e32 v12, 3, v0
	s_load_dwordx4 s[0:3], s[2:3], 0x0
	s_waitcnt lgkmcnt(0)
	; wave barrier
	s_waitcnt lgkmcnt(0)
	global_load_dwordx4 v[8:11], v12, s[4:5] offset:16
	global_load_dwordx4 v[4:7], v12, s[4:5]
	global_load_dwordx4 v[0:3], v12, s[4:5] offset:32
	v_add_u32_e32 v47, 0x400, v41
	ds_read2_b64 v[12:15], v41 offset0:126 offset1:189
	ds_read2_b64 v[16:19], v41 offset1:63
	ds_read_b64 v[24:25], v41 offset:3024
	ds_read2_b64 v[20:23], v47 offset0:124 offset1:187
	v_mul_u32_u24_e32 v28, 63, v26
	v_add_lshl_u32 v45, v28, v27, 3
	s_waitcnt lgkmcnt(3)
	v_mov_b32_e32 v26, v13
	v_mov_b32_e32 v29, v14
	s_waitcnt lgkmcnt(0)
	v_mov_b32_e32 v27, v20
	v_mov_b32_e32 v28, v23
	s_mov_b32 s6, 0x3eae86e6
	s_mov_b32 s7, 0xbf08b237
	;; [unrolled: 1-line block ×9, first 2 shown]
	s_waitcnt lgkmcnt(0)
	; wave barrier
	s_mov_b32 s20, 0x3f3bfb3b
	s_waitcnt vmcnt(2)
	v_mul_f32_e32 v31, v15, v8
	v_mul_f32_e32 v33, v14, v9
	;; [unrolled: 1-line block ×4, first 2 shown]
	s_waitcnt vmcnt(1)
	v_mul_f32_e32 v30, v13, v7
	s_waitcnt vmcnt(0)
	v_mul_f32_e32 v32, v23, v1
	v_mov_b32_e32 v13, v21
	v_mov_b32_e32 v20, v7
	;; [unrolled: 1-line block ×6, first 2 shown]
	v_pk_mul_f32 v[48:49], v[18:19], v[4:5] op_sel_hi:[1,0]
	v_mov_b32_e32 v50, v6
	v_mov_b32_e32 v51, v10
	;; [unrolled: 1-line block ×4, first 2 shown]
	v_pk_mul_f32 v[54:55], v[24:25], v[2:3] op_sel_hi:[1,0]
	v_mov_b32_e32 v36, v3
	v_fma_f32 v30, v12, v6, -v30
	v_pk_mul_f32 v[12:13], v[12:13], v[20:21]
	v_pk_mul_f32 v[14:15], v[22:23], v[14:15]
	v_fma_f32 v32, v22, v0, -v32
	v_pk_fma_f32 v[56:57], v[18:19], v[4:5], v[48:49] op_sel:[0,1,1] op_sel_hi:[1,1,0]
	v_pk_fma_f32 v[18:19], v[18:19], v[4:5], v[48:49] op_sel:[0,1,1] op_sel_hi:[1,1,0] neg_lo:[1,0,0] neg_hi:[1,0,0]
	v_pk_fma_f32 v[20:21], v[24:25], v[36:37], v[54:55] op_sel:[0,0,1] op_sel_hi:[1,0,0]
	v_pk_fma_f32 v[22:23], v[24:25], v[36:37], v[54:55] op_sel:[0,0,1] op_sel_hi:[1,0,0] neg_lo:[1,0,0] neg_hi:[1,0,0]
	v_pk_fma_f32 v[48:49], v[26:27], v[6:7], v[12:13]
	v_pk_fma_f32 v[12:13], v[26:27], v[50:51], v[12:13] neg_lo:[0,0,1] neg_hi:[0,0,1]
	v_pk_fma_f32 v[26:27], v[28:29], v[0:1], v[14:15]
	v_pk_fma_f32 v[14:15], v[28:29], v[52:53], v[14:15] neg_lo:[0,0,1] neg_hi:[0,0,1]
	v_mov_b32_e32 v57, v19
	v_mov_b32_e32 v21, v23
	;; [unrolled: 1-line block ×6, first 2 shown]
	v_pk_add_f32 v[24:25], v[30:31], v[32:33]
	v_mov_b32_e32 v19, v30
	v_mov_b32_e32 v23, v32
	v_pk_add_f32 v[28:29], v[56:57], v[20:21]
	v_pk_add_f32 v[30:31], v[36:37], v[38:39]
	;; [unrolled: 1-line block ×3, first 2 shown]
	v_mov_b32_e32 v22, v25
	v_mov_b32_e32 v12, v15
	;; [unrolled: 1-line block ×6, first 2 shown]
	v_pk_add_f32 v[20:21], v[56:57], v[20:21] neg_lo:[0,1] neg_hi:[0,1]
	v_pk_add_f32 v[26:27], v[48:49], v[26:27] neg_lo:[0,1] neg_hi:[0,1]
	v_pk_add_f32 v[48:49], v[24:25], v[30:31]
	v_pk_add_f32 v[18:19], v[18:19], v[22:23] neg_lo:[0,1] neg_hi:[0,1]
	v_pk_add_f32 v[12:13], v[12:13], v[14:15]
	v_mov_b32_e32 v39, v21
	v_mov_b32_e32 v51, v28
	;; [unrolled: 1-line block ×7, first 2 shown]
	v_pk_add_f32 v[38:39], v[38:39], v[26:27] neg_lo:[0,1] neg_hi:[0,1]
	v_pk_add_f32 v[50:51], v[50:51], v[24:25] neg_lo:[0,1] neg_hi:[0,1]
	v_mov_b32_e32 v31, v49
	v_mov_b32_e32 v52, v12
	;; [unrolled: 1-line block ×3, first 2 shown]
	v_pk_add_f32 v[12:13], v[48:49], v[12:13]
	v_pk_add_f32 v[22:23], v[36:37], v[18:19] neg_lo:[0,1] neg_hi:[0,1]
	v_pk_add_f32 v[36:37], v[26:27], v[18:19]
	v_pk_mul_f32 v[38:39], v[38:39], s[14:15]
	v_pk_add_f32 v[52:53], v[30:31], v[52:53] neg_lo:[0,1] neg_hi:[0,1]
	v_pk_add_f32 v[16:17], v[16:17], v[12:13]
	s_mov_b32 s14, 0x3f955555
	v_pk_mul_f32 v[48:49], v[50:51], s[16:17]
	v_pk_mul_f32 v[14:15], v[22:23], s[6:7]
	v_pk_add_f32 v[36:37], v[36:37], v[20:21]
	v_pk_mul_f32 v[50:51], v[52:53], s[18:19]
	v_pk_fma_f32 v[12:13], v[12:13], s[14:15], v[16:17] op_sel_hi:[1,0,1] neg_lo:[1,0,0] neg_hi:[1,0,0]
	v_pk_fma_f32 v[52:53], v[52:53], s[18:19], v[48:49]
	v_pk_fma_f32 v[22:23], v[22:23], s[6:7], v[38:39]
	v_pk_add_f32 v[52:53], v[52:53], v[12:13]
	v_pk_fma_f32 v[22:23], v[36:37], s[10:11], v[22:23] op_sel_hi:[1,0,1]
	v_mov_b32_e32 v27, v19
	v_pk_add_f32 v[54:55], v[52:53], v[22:23]
	v_pk_add_f32 v[22:23], v[52:53], v[22:23] neg_lo:[0,1] neg_hi:[0,1]
	v_mov_b32_e32 v52, v54
	v_mov_b32_e32 v53, v23
	v_mov_b32_e32 v25, v32
	v_mov_b32_e32 v31, v28
	ds_write2_b64 v45, v[16:17], v[52:53] offset1:9
	v_pk_add_f32 v[16:17], v[26:27], v[20:21] neg_lo:[0,1] neg_hi:[0,1]
	s_mov_b32 s18, 0x3f5ff5aa
	v_pk_add_f32 v[18:19], v[24:25], v[30:31] neg_lo:[0,1] neg_hi:[0,1]
	v_mov_b32_e32 v20, v50
	v_mov_b32_e32 v21, v49
	;; [unrolled: 1-line block ×6, first 2 shown]
	v_pk_fma_f32 v[20:21], v[18:19], s[20:21], v[20:21] op_sel_hi:[1,0,1] neg_lo:[1,0,1] neg_hi:[1,0,1]
	v_pk_fma_f32 v[24:25], v[16:17], s[18:19], v[24:25] op_sel_hi:[1,0,1] neg_lo:[1,0,1] neg_hi:[1,0,1]
	v_pk_fma_f32 v[18:19], v[18:19], s[20:21], v[48:49] op_sel_hi:[1,0,1] neg_lo:[0,0,1] neg_hi:[0,0,1]
	v_pk_fma_f32 v[14:15], v[16:17], s[18:19], v[38:39] op_sel_hi:[1,0,1] neg_lo:[0,0,1] neg_hi:[0,0,1]
	v_pk_add_f32 v[20:21], v[20:21], v[12:13]
	v_pk_fma_f32 v[24:25], v[36:37], s[10:11], v[24:25] op_sel_hi:[1,0,1]
	v_pk_add_f32 v[12:13], v[18:19], v[12:13]
	v_pk_fma_f32 v[14:15], v[36:37], s[10:11], v[14:15] op_sel_hi:[1,0,1]
	v_pk_add_f32 v[26:27], v[20:21], v[24:25]
	v_pk_add_f32 v[20:21], v[20:21], v[24:25] neg_lo:[0,1] neg_hi:[0,1]
	v_pk_add_f32 v[16:17], v[12:13], v[14:15] neg_lo:[0,1] neg_hi:[0,1]
	v_pk_add_f32 v[12:13], v[12:13], v[14:15]
	v_mov_b32_e32 v24, v26
	v_mov_b32_e32 v25, v21
	;; [unrolled: 1-line block ×4, first 2 shown]
	ds_write2_b64 v45, v[24:25], v[14:15] offset0:18 offset1:27
	v_mov_b32_e32 v13, v17
	v_mov_b32_e32 v21, v27
	;; [unrolled: 1-line block ×3, first 2 shown]
	v_mad_u64_u32 v[24:25], s[4:5], v44, 48, s[4:5]
	ds_write2_b64 v45, v[12:13], v[20:21] offset0:36 offset1:45
	ds_write_b64 v45, v[22:23] offset:432
	s_waitcnt lgkmcnt(0)
	; wave barrier
	s_waitcnt lgkmcnt(0)
	global_load_dwordx4 v[20:23], v[24:25], off offset:448
	global_load_dwordx4 v[16:19], v[24:25], off offset:432
	global_load_dwordx4 v[12:15], v[24:25], off offset:464
	ds_read2_b64 v[24:27], v41 offset0:126 offset1:189
	ds_read2_b64 v[28:31], v47 offset0:124 offset1:187
	ds_read2_b64 v[36:39], v41 offset1:63
	ds_read_b64 v[32:33], v41 offset:3024
	s_mov_b32 s4, s17
	s_waitcnt vmcnt(2) lgkmcnt(3)
	v_mul_f32_e32 v49, v26, v21
	s_waitcnt vmcnt(1)
	v_mov_b32_e32 v48, v19
	s_waitcnt lgkmcnt(2)
	v_mul_f32_e32 v51, v28, v23
	s_waitcnt vmcnt(0) lgkmcnt(0)
	v_pk_mul_f32 v[54:55], v[32:33], v[14:15] op_sel_hi:[1,0]
	v_mov_b32_e32 v50, v15
	v_pk_mul_f32 v[60:61], v[24:25], v[48:49] op_sel_hi:[1,0]
	v_pk_mul_f32 v[52:53], v[30:31], v[12:13] op_sel:[0,1]
	v_pk_fma_f32 v[62:63], v[24:25], v[18:19], v[60:61] op_sel:[1,0,0] op_sel_hi:[0,0,1]
	v_pk_fma_f32 v[24:25], v[24:25], v[18:19], v[60:61] op_sel:[1,0,0] op_sel_hi:[0,0,1] neg_lo:[0,0,1] neg_hi:[0,0,1]
	v_pk_fma_f32 v[60:61], v[32:33], v[50:51], v[54:55] op_sel:[0,0,1] op_sel_hi:[1,0,0]
	v_pk_fma_f32 v[32:33], v[32:33], v[50:51], v[54:55] op_sel:[0,0,1] op_sel_hi:[1,0,0] neg_lo:[1,0,0] neg_hi:[1,0,0]
	v_pk_mul_f32 v[54:55], v[38:39], v[16:17] op_sel_hi:[1,0]
	v_mul_f32_e32 v58, v27, v21
	v_mul_f32_e32 v59, v29, v23
	v_pk_fma_f32 v[56:57], v[30:31], v[12:13], v[52:53] op_sel:[1,0,0] op_sel_hi:[0,0,1]
	v_pk_fma_f32 v[30:31], v[30:31], v[12:13], v[52:53] op_sel:[1,0,0] op_sel_hi:[0,0,1] neg_lo:[0,0,1] neg_hi:[0,0,1]
	v_pk_fma_f32 v[64:65], v[38:39], v[16:17], v[54:55] op_sel:[0,1,1] op_sel_hi:[1,1,0]
	v_pk_fma_f32 v[38:39], v[38:39], v[16:17], v[54:55] op_sel:[0,1,1] op_sel_hi:[1,1,0] neg_lo:[1,0,0] neg_hi:[1,0,0]
	v_mul_f32_e32 v27, v27, v20
	v_mul_f32_e32 v29, v29, v22
	v_fma_f32 v53, v28, v22, -v59
	v_fma_f32 v59, v26, v20, -v58
	v_mov_b32_e32 v28, v39
	v_mov_b32_e32 v50, v33
	;; [unrolled: 1-line block ×6, first 2 shown]
	v_pk_add_f32 v[28:29], v[28:29], v[50:51]
	v_pk_add_f32 v[26:27], v[26:27], v[48:49]
	v_mov_b32_e32 v24, v62
	v_mov_b32_e32 v30, v56
	v_pk_add_f32 v[50:51], v[64:65], v[60:61]
	v_pk_add_f32 v[32:33], v[38:39], v[32:33] neg_lo:[0,1] neg_hi:[0,1]
	v_pk_add_f32 v[38:39], v[62:63], v[56:57]
	v_mov_b32_e32 v52, v29
	v_mov_b32_e32 v58, v27
	v_pk_add_f32 v[24:25], v[24:25], v[30:31] neg_lo:[0,1] neg_hi:[0,1]
	v_pk_add_f32 v[30:31], v[52:53], v[58:59] neg_lo:[0,1] neg_hi:[0,1]
	v_mov_b32_e32 v54, v59
	v_mov_b32_e32 v55, v38
	;; [unrolled: 1-line block ×4, first 2 shown]
	v_pk_add_f32 v[48:49], v[26:27], v[28:29]
	v_pk_add_f32 v[52:53], v[54:55], v[52:53]
	v_mov_b32_e32 v27, v38
	v_mov_b32_e32 v29, v50
	;; [unrolled: 1-line block ×4, first 2 shown]
	v_pk_add_f32 v[38:39], v[26:27], v[28:29] neg_lo:[0,1] neg_hi:[0,1]
	v_pk_add_f32 v[26:27], v[50:51], v[26:27] neg_lo:[0,1] neg_hi:[0,1]
	;; [unrolled: 1-line block ×3, first 2 shown]
	v_pk_add_f32 v[50:51], v[30:31], v[24:25]
	v_pk_add_f32 v[54:55], v[30:31], v[24:25] neg_lo:[0,1] neg_hi:[0,1]
	v_pk_add_f32 v[56:57], v[24:25], v[32:33] neg_lo:[0,1] neg_hi:[0,1]
	v_pk_add_f32 v[48:49], v[48:49], v[52:53]
	v_pk_mul_f32 v[26:27], v[26:27], s[16:17] op_sel_hi:[1,0]
	s_mov_b32 s16, s7
	v_pk_add_f32 v[30:31], v[32:33], v[30:31] neg_lo:[0,1] neg_hi:[0,1]
	v_pk_add_f32 v[32:33], v[50:51], v[32:33]
	v_pk_add_f32 v[24:25], v[36:37], v[48:49]
	v_pk_mul_f32 v[36:37], v[28:29], s[4:5] op_sel_hi:[1,0]
	v_pk_mul_f32 v[50:51], v[54:55], s[16:17] op_sel_hi:[1,0]
	v_pk_mul_f32 v[52:53], v[56:57], s[18:19] op_sel_hi:[1,0]
	v_pk_fma_f32 v[48:49], v[48:49], s[14:15], v[24:25] op_sel_hi:[1,0,1] neg_lo:[1,0,0] neg_hi:[1,0,0]
	v_pk_fma_f32 v[28:29], v[28:29], s[4:5], v[26:27] op_sel_hi:[1,0,1]
	v_pk_fma_f32 v[26:27], v[38:39], s[20:21], v[26:27] op_sel_hi:[1,0,1] neg_lo:[0,0,1] neg_hi:[0,0,1]
	v_pk_fma_f32 v[36:37], v[38:39], s[20:21], v[36:37] op_sel_hi:[1,0,1] neg_lo:[1,0,1] neg_hi:[1,0,1]
	v_pk_fma_f32 v[38:39], v[30:31], s[6:7], v[50:51] op_sel_hi:[1,0,1]
	v_pk_fma_f32 v[50:51], v[56:57], s[18:19], v[50:51] op_sel_hi:[1,0,1] neg_lo:[0,0,1] neg_hi:[0,0,1]
	v_pk_fma_f32 v[30:31], v[30:31], s[6:7], v[52:53] op_sel_hi:[1,0,1] neg_lo:[1,0,1] neg_hi:[1,0,1]
	v_pk_add_f32 v[28:29], v[28:29], v[48:49]
	v_pk_add_f32 v[52:53], v[26:27], v[48:49]
	;; [unrolled: 1-line block ×3, first 2 shown]
	v_pk_fma_f32 v[26:27], v[32:33], s[10:11], v[38:39] op_sel_hi:[1,0,1]
	v_pk_fma_f32 v[48:49], v[32:33], s[10:11], v[50:51] op_sel_hi:[1,0,1]
	;; [unrolled: 1-line block ×3, first 2 shown]
	v_pk_add_f32 v[50:51], v[28:29], v[26:27]
	v_pk_add_f32 v[32:33], v[28:29], v[26:27] neg_lo:[0,1] neg_hi:[0,1]
	v_pk_add_f32 v[54:55], v[36:37], v[30:31]
	v_pk_add_f32 v[38:39], v[36:37], v[30:31] neg_lo:[0,1] neg_hi:[0,1]
	v_pk_add_f32 v[56:57], v[52:53], v[48:49] neg_lo:[0,1] neg_hi:[0,1]
	v_pk_add_f32 v[36:37], v[52:53], v[48:49]
	v_mov_b32_e32 v26, v50
	v_mov_b32_e32 v27, v33
	;; [unrolled: 1-line block ×9, first 2 shown]
	ds_write2_b64 v41, v[24:25], v[26:27] offset1:63
	ds_write2_b64 v41, v[28:29], v[30:31] offset0:126 offset1:189
	ds_write2_b64 v47, v[36:37], v[38:39] offset0:124 offset1:187
	ds_write_b64 v41, v[32:33] offset:3024
	s_waitcnt lgkmcnt(0)
	; wave barrier
	s_waitcnt lgkmcnt(0)
	s_and_saveexec_b64 s[4:5], vcc
	s_cbranch_execz .LBB0_9
; %bb.8:
	global_load_dwordx2 v[52:53], v41, s[8:9] offset:3528
	s_add_u32 s6, s8, 0xdc8
	s_addc_u32 s7, s9, 0
	global_load_dwordx2 v[54:55], v41, s[6:7] offset:392
	global_load_dwordx2 v[60:61], v41, s[6:7] offset:784
	;; [unrolled: 1-line block ×8, first 2 shown]
	ds_read2_b64 v[48:51], v41 offset1:49
	s_waitcnt vmcnt(8) lgkmcnt(0)
	v_mul_f32_e32 v47, v49, v53
	v_mul_f32_e32 v57, v48, v53
	v_fma_f32 v56, v48, v52, -v47
	v_fmac_f32_e32 v57, v49, v52
	s_waitcnt vmcnt(7)
	v_mul_f32_e32 v47, v51, v55
	v_mul_f32_e32 v49, v50, v55
	v_fma_f32 v48, v50, v54, -v47
	v_fmac_f32_e32 v49, v51, v54
	ds_write2_b64 v41, v[56:57], v[48:49] offset1:49
	ds_read2_b64 v[48:51], v41 offset0:98 offset1:147
	v_add_u32_e32 v47, 0x800, v41
	ds_read2_b64 v[52:55], v41 offset0:196 offset1:245
	ds_read2_b64 v[56:59], v47 offset0:38 offset1:87
	ds_read_b64 v[74:75], v41 offset:3136
	s_waitcnt vmcnt(6) lgkmcnt(3)
	v_mul_f32_e32 v76, v49, v61
	v_mul_f32_e32 v77, v48, v61
	s_waitcnt vmcnt(5)
	v_mul_f32_e32 v78, v51, v63
	v_mul_f32_e32 v61, v50, v63
	s_waitcnt vmcnt(4) lgkmcnt(2)
	v_mul_f32_e32 v79, v53, v65
	v_mul_f32_e32 v63, v52, v65
	s_waitcnt vmcnt(3)
	v_mul_f32_e32 v80, v55, v67
	v_mul_f32_e32 v65, v54, v67
	;; [unrolled: 6-line block ×3, first 2 shown]
	s_waitcnt vmcnt(0) lgkmcnt(0)
	v_mul_f32_e32 v83, v75, v73
	v_mul_f32_e32 v71, v74, v73
	v_fma_f32 v76, v48, v60, -v76
	v_fmac_f32_e32 v77, v49, v60
	v_fma_f32 v60, v50, v62, -v78
	v_fmac_f32_e32 v61, v51, v62
	;; [unrolled: 2-line block ×7, first 2 shown]
	ds_write2_b64 v41, v[76:77], v[60:61] offset0:98 offset1:147
	ds_write2_b64 v41, v[62:63], v[64:65] offset0:196 offset1:245
	ds_write2_b64 v47, v[66:67], v[68:69] offset0:38 offset1:87
	ds_write_b64 v41, v[70:71] offset:3136
.LBB0_9:
	s_or_b64 exec, exec, s[4:5]
	s_waitcnt lgkmcnt(0)
	; wave barrier
	s_waitcnt lgkmcnt(0)
	s_and_saveexec_b64 s[4:5], vcc
	s_cbranch_execz .LBB0_11
; %bb.10:
	v_add_u32_e32 v32, 0x800, v41
	ds_read2_b64 v[24:27], v41 offset1:49
	ds_read2_b64 v[28:31], v41 offset0:98 offset1:147
	ds_read2_b64 v[32:35], v32 offset0:38 offset1:87
	;; [unrolled: 1-line block ×3, first 2 shown]
	ds_read_b64 v[42:43], v41 offset:3136
.LBB0_11:
	s_or_b64 exec, exec, s[4:5]
	s_waitcnt lgkmcnt(0)
	; wave barrier
	s_waitcnt lgkmcnt(0)
	s_and_saveexec_b64 s[4:5], vcc
	s_cbranch_execz .LBB0_13
; %bb.12:
	s_mov_b32 s10, 0x3f248dbb
	v_mov_b32_e32 v56, v29
	v_mov_b32_e32 v57, v26
	;; [unrolled: 1-line block ×4, first 2 shown]
	s_mov_b32 s11, 0x3f7c1c5c
	v_pk_add_f32 v[48:49], v[34:35], v[28:29]
	v_pk_add_f32 v[52:53], v[42:43], v[26:27]
	v_pk_add_f32 v[56:57], v[56:57], v[58:59] neg_lo:[0,1] neg_hi:[0,1]
	v_mov_b32_e32 v26, v27
	v_mov_b32_e32 v27, v28
	;; [unrolled: 1-line block ×4, first 2 shown]
	s_mov_b32 s14, s11
	s_mov_b32 s15, s10
	v_pk_add_f32 v[50:51], v[32:33], v[30:31]
	v_lshlrev_b32_e32 v66, 3, v46
	v_pk_add_f32 v[46:47], v[48:49], v[52:53]
	v_pk_add_f32 v[26:27], v[26:27], v[28:29] neg_lo:[0,1] neg_hi:[0,1]
	v_pk_add_f32 v[30:31], v[30:31], v[32:33] neg_lo:[0,1] neg_hi:[0,1]
	s_mov_b32 s6, 0x3f5db3d7
	v_pk_mul_f32 v[34:35], v[56:57], s[14:15]
	v_pk_add_f32 v[54:55], v[50:51], v[46:47]
	v_pk_add_f32 v[28:29], v[36:37], v[38:39] neg_lo:[0,1] neg_hi:[0,1]
	v_pk_mul_f32 v[30:31], v[30:31], s[6:7] op_sel_hi:[1,0]
	v_pk_fma_f32 v[34:35], v[26:27], s[10:11], v[34:35]
	s_mov_b32 s14, 0x3eaf1d44
	v_pk_add_f32 v[54:55], v[36:37], v[54:55]
	v_pk_add_f32 v[32:33], v[38:39], v[36:37]
	v_pk_add_f32 v[34:35], v[30:31], v[34:35] op_sel:[1,0] op_sel_hi:[0,1]
	v_pk_mul_f32 v[36:37], v[28:29], s[14:15] op_sel_hi:[1,0]
	s_mov_b32 s18, 0x3f441b7d
	v_pk_add_f32 v[34:35], v[36:37], v[34:35] op_sel:[1,0] op_sel_hi:[0,1]
	s_mov_b32 s16, 0x3e31d0d4
	v_pk_fma_f32 v[36:37], v[52:53], s[18:19], v[24:25] op_sel_hi:[1,0,1]
	s_mov_b32 s20, 0x3f708fb2
	v_pk_fma_f32 v[36:37], v[48:49], s[16:17], v[36:37] op_sel_hi:[1,0,1]
	v_pk_add_f32 v[54:55], v[38:39], v[54:55]
	v_pk_fma_f32 v[36:37], v[50:51], 0.5, v[36:37] op_sel_hi:[1,0,1] neg_lo:[1,0,0] neg_hi:[1,0,0]
	v_pk_add_f32 v[54:55], v[24:25], v[54:55]
	v_pk_fma_f32 v[36:37], v[32:33], s[20:21], v[36:37] op_sel_hi:[1,0,1] neg_lo:[1,0,0] neg_hi:[1,0,0]
	v_mov_b32_e32 v64, v57
	v_pk_add_f32 v[38:39], v[36:37], v[34:35] neg_lo:[0,1] neg_hi:[0,1]
	v_pk_add_f32 v[36:37], v[36:37], v[34:35]
	v_mov_b32_e32 v65, v26
	v_mov_b32_e32 v36, v38
	;; [unrolled: 1-line block ×3, first 2 shown]
	ds_write2_b64 v66, v[54:55], v[36:37] offset1:1
	v_mov_b32_e32 v37, v27
	v_mov_b32_e32 v42, v26
	v_pk_add_f32 v[64:65], v[28:29], v[64:65]
	v_mov_b32_e32 v26, v27
	v_mov_b32_e32 v27, v56
	s_mov_b32 s22, s11
	v_pk_add_f32 v[26:27], v[64:65], v[26:27] neg_lo:[0,1] neg_hi:[0,1]
	v_mov_b32_e32 v36, v56
	v_pk_mul_f32 v[54:55], v[28:29], s[10:11] op_sel_hi:[1,0]
	v_pk_fma_f32 v[58:59], v[32:33], s[18:19], v[24:25] op_sel_hi:[1,0,1]
	v_pk_add_f32 v[62:63], v[50:51], v[24:25]
	v_pk_mul_f32 v[26:27], v[26:27], s[6:7] op_sel_hi:[1,0]
	v_pk_fma_f32 v[24:25], v[48:49], s[18:19], v[24:25] op_sel_hi:[1,0,1]
	s_mov_b32 s6, 0xbf248dbb
	v_pk_mul_f32 v[28:29], v[28:29], s[22:23] op_sel_hi:[1,0]
	v_pk_fma_f32 v[24:25], v[32:33], s[16:17], v[24:25] op_sel_hi:[1,0,1]
	v_pk_fma_f32 v[28:29], v[36:37], s[6:7], v[28:29] op_sel:[0,0,1] op_sel_hi:[1,0,0] neg_lo:[0,0,1] neg_hi:[0,0,1]
	v_mov_b32_e32 v43, v57
	v_pk_add_f32 v[46:47], v[32:33], v[46:47]
	v_pk_add_f32 v[28:29], v[30:31], v[28:29] op_sel:[1,0] op_sel_hi:[0,1]
	v_pk_fma_f32 v[24:25], v[50:51], 0.5, v[24:25] op_sel_hi:[1,0,1] neg_lo:[1,0,0] neg_hi:[1,0,0]
	v_pk_fma_f32 v[54:55], v[42:43], s[22:23], v[54:55] op_sel:[0,0,1] op_sel_hi:[1,0,0] neg_lo:[0,0,1] neg_hi:[0,0,1]
	v_pk_fma_f32 v[58:59], v[52:53], s[16:17], v[58:59] op_sel_hi:[1,0,1]
	v_pk_fma_f32 v[46:47], v[46:47], 0.5, v[62:63] op_sel_hi:[1,0,1] neg_lo:[1,0,0] neg_hi:[1,0,0]
	v_pk_fma_f32 v[28:29], v[42:43], s[14:15], v[28:29] op_sel_hi:[1,0,1]
	v_pk_fma_f32 v[24:25], v[52:53], s[20:21], v[24:25] op_sel_hi:[1,0,1] neg_lo:[1,0,0] neg_hi:[1,0,0]
	v_pk_add_f32 v[54:55], v[54:55], v[30:31] op_sel:[0,1] op_sel_hi:[1,0] neg_lo:[0,1] neg_hi:[0,1]
	v_pk_fma_f32 v[58:59], v[50:51], 0.5, v[58:59] op_sel_hi:[1,0,1] neg_lo:[1,0,0] neg_hi:[1,0,0]
	v_pk_add_f32 v[56:57], v[46:47], v[26:27] op_sel:[0,1] op_sel_hi:[1,0] neg_lo:[0,1] neg_hi:[0,1]
	v_pk_add_f32 v[46:47], v[46:47], v[26:27] op_sel:[0,1] op_sel_hi:[1,0]
	v_pk_add_f32 v[30:31], v[24:25], v[28:29] neg_lo:[0,1] neg_hi:[0,1]
	v_pk_add_f32 v[24:25], v[24:25], v[28:29]
	v_pk_fma_f32 v[54:55], v[36:37], s[14:15], v[54:55] op_sel_hi:[1,0,1]
	v_pk_fma_f32 v[58:59], v[48:49], s[20:21], v[58:59] op_sel_hi:[1,0,1] neg_lo:[1,0,0] neg_hi:[1,0,0]
	v_mov_b32_e32 v57, v47
	v_mov_b32_e32 v31, v25
	v_pk_add_f32 v[60:61], v[58:59], v[54:55] neg_lo:[0,1] neg_hi:[0,1]
	v_pk_add_f32 v[58:59], v[58:59], v[54:55]
	v_pk_fma_f32 v[24:25], v[28:29], 2.0, v[30:31] op_sel_hi:[1,0,1]
	v_pk_fma_f32 v[32:33], v[26:27], 2.0, v[56:57] op_sel:[1,0,0] op_sel_hi:[0,0,1]
	v_pk_fma_f32 v[28:29], v[28:29], 2.0, v[30:31] op_sel_hi:[1,0,1] neg_lo:[1,0,0] neg_hi:[1,0,0]
	v_pk_fma_f32 v[26:27], v[26:27], 2.0, v[56:57] op_sel:[1,0,0] op_sel_hi:[0,0,1] neg_lo:[1,0,0] neg_hi:[1,0,0]
	v_mov_b32_e32 v61, v59
	v_mov_b32_e32 v25, v29
	;; [unrolled: 1-line block ×3, first 2 shown]
	ds_write_b64 v66, v[30:31] offset:32
	ds_write2_b64 v66, v[24:25], v[32:33] offset0:5 offset1:6
	v_pk_fma_f32 v[24:25], v[54:55], 2.0, v[60:61] op_sel_hi:[1,0,1]
	v_pk_fma_f32 v[26:27], v[34:35], 2.0, v[38:39] op_sel_hi:[1,0,1]
	v_pk_fma_f32 v[28:29], v[54:55], 2.0, v[60:61] op_sel_hi:[1,0,1] neg_lo:[1,0,0] neg_hi:[1,0,0]
	v_pk_fma_f32 v[30:31], v[34:35], 2.0, v[38:39] op_sel_hi:[1,0,1] neg_lo:[1,0,0] neg_hi:[1,0,0]
	v_mov_b32_e32 v58, v60
	v_mov_b32_e32 v46, v56
	;; [unrolled: 1-line block ×4, first 2 shown]
	ds_write2_b64 v66, v[58:59], v[46:47] offset0:2 offset1:3
	ds_write2_b64 v66, v[24:25], v[26:27] offset0:7 offset1:8
.LBB0_13:
	s_or_b64 exec, exec, s[4:5]
	s_waitcnt lgkmcnt(0)
	; wave barrier
	s_waitcnt lgkmcnt(0)
	ds_read2_b64 v[26:29], v41 offset0:126 offset1:189
	ds_read2_b64 v[30:33], v41 offset1:63
	v_add_u32_e32 v24, 0x400, v41
	ds_read2_b64 v[34:37], v24 offset0:124 offset1:187
	ds_read_b64 v[38:39], v41 offset:3024
	v_mov_b32_e32 v46, v9
	s_waitcnt lgkmcnt(3)
	v_pk_mul_f32 v[48:49], v[8:9], v[28:29] op_sel:[0,1] op_sel_hi:[1,0]
	v_pk_mul_f32 v[42:43], v[8:9], v[28:29]
	v_mov_b32_e32 v48, v49
	s_waitcnt lgkmcnt(1)
	v_pk_mul_f32 v[50:51], v[10:11], v[34:35] op_sel:[0,1] op_sel_hi:[1,0]
	v_pk_fma_f32 v[8:9], v[8:9], v[28:29], v[48:49] op_sel:[0,1,0] op_sel_hi:[1,0,1] neg_lo:[0,0,1] neg_hi:[0,0,1]
	v_mov_b32_e32 v48, v11
	v_mov_b32_e32 v50, v51
	v_pk_mul_f32 v[46:47], v[46:47], v[28:29] op_sel:[0,1] op_sel_hi:[1,0]
	v_pk_mul_f32 v[28:29], v[10:11], v[34:35]
	v_pk_mul_f32 v[48:49], v[48:49], v[34:35] op_sel:[0,1] op_sel_hi:[1,0]
	v_pk_fma_f32 v[10:11], v[10:11], v[34:35], v[50:51] op_sel:[0,1,0] op_sel_hi:[1,0,1] neg_lo:[0,0,1] neg_hi:[0,0,1]
	v_mov_b32_e32 v34, v33
	v_pk_mul_f32 v[50:51], v[4:5], v[32:33] op_sel_hi:[1,0]
	s_mov_b32 s14, 0x3f08b237
	v_pk_fma_f32 v[34:35], v[4:5], v[34:35], v[50:51] op_sel:[0,0,1] op_sel_hi:[1,1,0] neg_lo:[0,0,1] neg_hi:[0,0,1]
	v_pk_fma_f32 v[4:5], v[4:5], v[32:33], v[50:51] op_sel:[0,1,1] op_sel_hi:[1,1,0]
	v_pk_mul_f32 v[32:33], v[6:7], v[26:27] op_sel_hi:[1,0]
	v_mov_b32_e32 v4, v27
	v_mov_b32_e32 v35, v5
	v_pk_fma_f32 v[4:5], v[6:7], v[4:5], v[32:33] op_sel:[0,0,1] op_sel_hi:[1,1,0] neg_lo:[0,0,1] neg_hi:[0,0,1]
	v_pk_fma_f32 v[6:7], v[6:7], v[26:27], v[32:33] op_sel:[0,1,1] op_sel_hi:[1,1,0]
	v_pk_mul_f32 v[26:27], v[0:1], v[36:37] op_sel_hi:[1,0]
	v_mov_b32_e32 v6, v37
	v_mov_b32_e32 v5, v7
	v_pk_fma_f32 v[6:7], v[0:1], v[6:7], v[26:27] op_sel:[0,0,1] op_sel_hi:[1,1,0] neg_lo:[0,0,1] neg_hi:[0,0,1]
	v_pk_fma_f32 v[0:1], v[0:1], v[36:37], v[26:27] op_sel:[0,1,1] op_sel_hi:[1,1,0]
	s_waitcnt lgkmcnt(0)
	v_pk_mul_f32 v[26:27], v[2:3], v[38:39] op_sel_hi:[1,0]
	v_mov_b32_e32 v0, v39
	v_mov_b32_e32 v7, v1
	v_pk_fma_f32 v[0:1], v[2:3], v[0:1], v[26:27] op_sel:[0,0,1] op_sel_hi:[1,1,0] neg_lo:[0,0,1] neg_hi:[0,0,1]
	v_pk_fma_f32 v[2:3], v[2:3], v[38:39], v[26:27] op_sel:[0,1,1] op_sel_hi:[1,1,0]
	v_mov_b32_e32 v29, v34
	v_mov_b32_e32 v1, v3
	;; [unrolled: 1-line block ×5, first 2 shown]
	v_pk_add_f32 v[2:3], v[34:35], v[0:1]
	v_pk_add_f32 v[26:27], v[34:35], v[0:1] neg_lo:[0,1] neg_hi:[0,1]
	v_pk_add_f32 v[32:33], v[4:5], v[6:7]
	v_pk_add_f32 v[36:37], v[4:5], v[6:7] neg_lo:[0,1] neg_hi:[0,1]
	v_pk_add_f32 v[0:1], v[28:29], v[48:49]
	v_pk_add_f32 v[4:5], v[42:43], v[46:47]
	v_mov_b32_e32 v11, v0
	v_mov_b32_e32 v9, v4
	v_pk_add_f32 v[6:7], v[10:11], v[8:9] neg_lo:[0,1] neg_hi:[0,1]
	v_mov_b32_e32 v42, v33
	v_mov_b32_e32 v43, v8
	;; [unrolled: 1-line block ×4, first 2 shown]
	v_pk_add_f32 v[8:9], v[42:43], v[8:9]
	v_pk_add_f32 v[10:11], v[4:5], v[0:1]
	v_mov_b32_e32 v28, v6
	v_mov_b32_e32 v29, v27
	;; [unrolled: 1-line block ×6, first 2 shown]
	s_mov_b32 s20, 0x3d64c772
	v_pk_add_f32 v[28:29], v[28:29], v[34:35] neg_lo:[0,1] neg_hi:[0,1]
	s_mov_b32 s15, 0xbeae86e6
	v_mov_b32_e32 v34, v26
	v_mov_b32_e32 v38, v6
	;; [unrolled: 1-line block ×3, first 2 shown]
	v_pk_add_f32 v[42:43], v[0:1], v[42:43] neg_lo:[0,1] neg_hi:[0,1]
	v_mov_b32_e32 v46, v3
	v_mov_b32_e32 v47, v9
	;; [unrolled: 1-line block ×3, first 2 shown]
	v_pk_add_f32 v[8:9], v[8:9], v[10:11]
	s_mov_b32 s21, 0x3f4a47b2
	v_pk_mul_f32 v[28:29], v[28:29], s[14:15]
	v_pk_add_f32 v[34:35], v[34:35], v[38:39] neg_lo:[0,1] neg_hi:[0,1]
	s_mov_b32 s6, s15
	s_mov_b32 s7, s14
	v_pk_add_f32 v[6:7], v[6:7], v[36:37]
	v_pk_add_f32 v[46:47], v[46:47], v[4:5] neg_lo:[0,1] neg_hi:[0,1]
	v_pk_add_f32 v[10:11], v[30:31], v[8:9]
	s_mov_b32 s18, 0x3f955555
	v_pk_mul_f32 v[30:31], v[42:43], s[20:21]
	s_mov_b32 s22, s21
	s_mov_b32 s23, s20
	v_pk_mul_f32 v[38:39], v[34:35], s[6:7]
	v_pk_add_f32 v[6:7], v[6:7], v[26:27]
	s_mov_b32 s4, 0xbee1c552
	v_pk_mul_f32 v[42:43], v[46:47], s[22:23]
	v_pk_fma_f32 v[8:9], v[8:9], s[18:19], v[10:11] op_sel_hi:[1,0,1] neg_lo:[1,0,0] neg_hi:[1,0,0]
	v_pk_fma_f32 v[46:47], v[46:47], s[22:23], v[30:31]
	v_pk_fma_f32 v[34:35], v[34:35], s[6:7], v[28:29]
	v_pk_add_f32 v[46:47], v[46:47], v[8:9]
	v_pk_fma_f32 v[34:35], v[6:7], s[4:5], v[34:35] op_sel_hi:[1,0,1]
	v_mov_b32_e32 v4, v33
	v_pk_add_f32 v[48:49], v[46:47], v[34:35]
	v_pk_add_f32 v[34:35], v[46:47], v[34:35] neg_lo:[0,1] neg_hi:[0,1]
	v_mov_b32_e32 v46, v48
	v_mov_b32_e32 v47, v35
	;; [unrolled: 1-line block ×3, first 2 shown]
	s_waitcnt lgkmcnt(0)
	; wave barrier
	ds_write2_b64 v45, v[10:11], v[46:47] offset1:9
	v_pk_add_f32 v[10:11], v[36:37], v[26:27] neg_lo:[0,1] neg_hi:[0,1]
	s_mov_b32 s10, 0xbf5ff5aa
	v_pk_add_f32 v[0:1], v[4:5], v[0:1] neg_lo:[0,1] neg_hi:[0,1]
	s_mov_b32 s16, 0x3f3bfb3b
	v_mov_b32_e32 v2, v42
	v_mov_b32_e32 v3, v31
	;; [unrolled: 1-line block ×6, first 2 shown]
	v_pk_fma_f32 v[2:3], v[0:1], s[16:17], v[2:3] op_sel_hi:[1,0,1] neg_lo:[1,0,1] neg_hi:[1,0,1]
	v_pk_fma_f32 v[4:5], v[10:11], s[10:11], v[4:5] op_sel_hi:[1,0,1] neg_lo:[1,0,1] neg_hi:[1,0,1]
	;; [unrolled: 1-line block ×4, first 2 shown]
	v_pk_add_f32 v[2:3], v[2:3], v[8:9]
	v_pk_fma_f32 v[4:5], v[6:7], s[4:5], v[4:5] op_sel_hi:[1,0,1]
	v_pk_add_f32 v[0:1], v[0:1], v[8:9]
	v_pk_fma_f32 v[6:7], v[6:7], s[4:5], v[10:11] op_sel_hi:[1,0,1]
	v_pk_add_f32 v[26:27], v[2:3], v[4:5]
	v_pk_add_f32 v[2:3], v[2:3], v[4:5] neg_lo:[0,1] neg_hi:[0,1]
	v_pk_add_f32 v[8:9], v[0:1], v[6:7] neg_lo:[0,1] neg_hi:[0,1]
	v_pk_add_f32 v[0:1], v[0:1], v[6:7]
	v_mov_b32_e32 v4, v26
	v_mov_b32_e32 v5, v3
	v_mov_b32_e32 v6, v8
	v_mov_b32_e32 v7, v1
	v_mov_b32_e32 v1, v9
	v_mov_b32_e32 v3, v27
	v_mov_b32_e32 v35, v49
	ds_write2_b64 v45, v[4:5], v[6:7] offset0:18 offset1:27
	ds_write2_b64 v45, v[0:1], v[2:3] offset0:36 offset1:45
	ds_write_b64 v45, v[34:35] offset:432
	s_waitcnt lgkmcnt(0)
	; wave barrier
	s_waitcnt lgkmcnt(0)
	ds_read2_b64 v[0:3], v41 offset0:126 offset1:189
	ds_read2_b64 v[4:7], v41 offset1:63
	ds_read2_b64 v[8:11], v24 offset0:124 offset1:187
	ds_read_b64 v[26:27], v41 offset:3024
	v_mov_b32_e32 v30, v21
	s_waitcnt lgkmcnt(3)
	v_pk_mul_f32 v[32:33], v[20:21], v[2:3] op_sel:[0,1] op_sel_hi:[1,0]
	v_pk_mul_f32 v[28:29], v[20:21], v[2:3]
	v_mov_b32_e32 v32, v33
	s_waitcnt lgkmcnt(1)
	v_pk_mul_f32 v[34:35], v[22:23], v[8:9] op_sel:[0,1] op_sel_hi:[1,0]
	v_pk_mul_f32 v[30:31], v[30:31], v[2:3] op_sel:[0,1] op_sel_hi:[1,0]
	v_pk_fma_f32 v[2:3], v[20:21], v[2:3], v[32:33] op_sel:[0,1,0] op_sel_hi:[1,0,1] neg_lo:[0,0,1] neg_hi:[0,0,1]
	v_mov_b32_e32 v32, v23
	v_mov_b32_e32 v34, v35
	v_pk_mul_f32 v[20:21], v[22:23], v[8:9]
	v_pk_mul_f32 v[32:33], v[32:33], v[8:9] op_sel:[0,1] op_sel_hi:[1,0]
	v_pk_fma_f32 v[8:9], v[22:23], v[8:9], v[34:35] op_sel:[0,1,0] op_sel_hi:[1,0,1] neg_lo:[0,0,1] neg_hi:[0,0,1]
	v_pk_mul_f32 v[34:35], v[16:17], v[6:7] op_sel_hi:[1,0]
	v_mov_b32_e32 v22, v7
	v_pk_fma_f32 v[6:7], v[16:17], v[6:7], v[34:35] op_sel:[0,1,1] op_sel_hi:[1,1,0]
	v_pk_fma_f32 v[22:23], v[16:17], v[22:23], v[34:35] op_sel:[0,0,1] op_sel_hi:[1,1,0] neg_lo:[0,0,1] neg_hi:[0,0,1]
	v_mov_b32_e32 v6, v1
	v_pk_mul_f32 v[16:17], v[18:19], v[0:1] op_sel_hi:[1,0]
	v_mov_b32_e32 v23, v7
	v_pk_fma_f32 v[6:7], v[18:19], v[6:7], v[16:17] op_sel:[0,0,1] op_sel_hi:[1,1,0] neg_lo:[0,0,1] neg_hi:[0,0,1]
	v_pk_fma_f32 v[0:1], v[18:19], v[0:1], v[16:17] op_sel:[0,1,1] op_sel_hi:[1,1,0]
	v_pk_mul_f32 v[16:17], v[12:13], v[10:11] op_sel_hi:[1,0]
	v_mov_b32_e32 v0, v11
	v_pk_fma_f32 v[10:11], v[12:13], v[10:11], v[16:17] op_sel:[0,1,1] op_sel_hi:[1,1,0]
	v_mov_b32_e32 v7, v1
	v_pk_fma_f32 v[0:1], v[12:13], v[0:1], v[16:17] op_sel:[0,0,1] op_sel_hi:[1,1,0] neg_lo:[0,0,1] neg_hi:[0,0,1]
	s_waitcnt lgkmcnt(0)
	v_mov_b32_e32 v10, v27
	v_pk_mul_f32 v[12:13], v[14:15], v[26:27] op_sel_hi:[1,0]
	v_mov_b32_e32 v1, v11
	v_pk_fma_f32 v[10:11], v[14:15], v[10:11], v[12:13] op_sel:[0,0,1] op_sel_hi:[1,1,0] neg_lo:[0,0,1] neg_hi:[0,0,1]
	v_pk_fma_f32 v[12:13], v[14:15], v[26:27], v[12:13] op_sel:[0,1,1] op_sel_hi:[1,1,0]
	v_mov_b32_e32 v21, v22
	v_mov_b32_e32 v11, v13
	;; [unrolled: 1-line block ×5, first 2 shown]
	v_pk_add_f32 v[12:13], v[22:23], v[10:11]
	v_pk_add_f32 v[14:15], v[22:23], v[10:11] neg_lo:[0,1] neg_hi:[0,1]
	v_pk_add_f32 v[16:17], v[6:7], v[0:1]
	v_pk_add_f32 v[18:19], v[6:7], v[0:1] neg_lo:[0,1] neg_hi:[0,1]
	v_pk_add_f32 v[10:11], v[20:21], v[32:33]
	v_pk_add_f32 v[0:1], v[28:29], v[30:31]
	v_mov_b32_e32 v9, v10
	v_mov_b32_e32 v3, v0
	v_pk_add_f32 v[6:7], v[8:9], v[2:3] neg_lo:[0,1] neg_hi:[0,1]
	v_mov_b32_e32 v28, v17
	v_mov_b32_e32 v29, v2
	;; [unrolled: 1-line block ×4, first 2 shown]
	v_pk_add_f32 v[2:3], v[28:29], v[2:3]
	v_pk_add_f32 v[8:9], v[0:1], v[10:11]
	v_mov_b32_e32 v20, v6
	v_mov_b32_e32 v21, v15
	;; [unrolled: 1-line block ×6, first 2 shown]
	v_pk_add_f32 v[20:21], v[20:21], v[22:23] neg_lo:[0,1] neg_hi:[0,1]
	v_mov_b32_e32 v22, v14
	v_mov_b32_e32 v26, v6
	;; [unrolled: 1-line block ×3, first 2 shown]
	v_pk_add_f32 v[28:29], v[10:11], v[28:29] neg_lo:[0,1] neg_hi:[0,1]
	v_mov_b32_e32 v30, v13
	v_mov_b32_e32 v31, v3
	;; [unrolled: 1-line block ×3, first 2 shown]
	v_pk_add_f32 v[2:3], v[2:3], v[8:9]
	v_pk_mul_f32 v[20:21], v[20:21], s[14:15]
	v_pk_add_f32 v[22:23], v[22:23], v[26:27] neg_lo:[0,1] neg_hi:[0,1]
	v_pk_add_f32 v[6:7], v[6:7], v[18:19]
	v_pk_add_f32 v[30:31], v[30:31], v[0:1] neg_lo:[0,1] neg_hi:[0,1]
	v_pk_add_f32 v[4:5], v[4:5], v[2:3]
	v_pk_mul_f32 v[8:9], v[28:29], s[20:21]
	v_pk_mul_f32 v[26:27], v[22:23], s[6:7]
	v_pk_add_f32 v[6:7], v[6:7], v[14:15]
	v_pk_mul_f32 v[28:29], v[30:31], s[22:23]
	v_pk_fma_f32 v[2:3], v[2:3], s[18:19], v[4:5] op_sel_hi:[1,0,1] neg_lo:[1,0,0] neg_hi:[1,0,0]
	v_pk_fma_f32 v[30:31], v[30:31], s[22:23], v[8:9]
	v_pk_fma_f32 v[22:23], v[22:23], s[6:7], v[20:21]
	v_pk_add_f32 v[30:31], v[30:31], v[2:3]
	v_pk_fma_f32 v[22:23], v[6:7], s[4:5], v[22:23] op_sel_hi:[1,0,1]
	v_mov_b32_e32 v0, v17
	v_pk_add_f32 v[32:33], v[30:31], v[22:23]
	v_pk_add_f32 v[22:23], v[30:31], v[22:23] neg_lo:[0,1] neg_hi:[0,1]
	v_mov_b32_e32 v30, v32
	v_mov_b32_e32 v31, v23
	;; [unrolled: 1-line block ×3, first 2 shown]
	ds_write2_b64 v41, v[4:5], v[30:31] offset1:63
	v_pk_add_f32 v[4:5], v[18:19], v[14:15] neg_lo:[0,1] neg_hi:[0,1]
	v_pk_add_f32 v[0:1], v[0:1], v[10:11] neg_lo:[0,1] neg_hi:[0,1]
	v_mov_b32_e32 v10, v28
	v_mov_b32_e32 v11, v9
	;; [unrolled: 1-line block ×6, first 2 shown]
	v_pk_fma_f32 v[10:11], v[0:1], s[16:17], v[10:11] op_sel_hi:[1,0,1] neg_lo:[1,0,1] neg_hi:[1,0,1]
	v_pk_fma_f32 v[12:13], v[4:5], s[10:11], v[12:13] op_sel_hi:[1,0,1] neg_lo:[1,0,1] neg_hi:[1,0,1]
	;; [unrolled: 1-line block ×4, first 2 shown]
	v_pk_add_f32 v[10:11], v[10:11], v[2:3]
	v_pk_fma_f32 v[12:13], v[6:7], s[4:5], v[12:13] op_sel_hi:[1,0,1]
	v_pk_add_f32 v[0:1], v[0:1], v[2:3]
	v_pk_fma_f32 v[2:3], v[6:7], s[4:5], v[4:5] op_sel_hi:[1,0,1]
	v_pk_add_f32 v[14:15], v[10:11], v[12:13]
	v_pk_add_f32 v[10:11], v[10:11], v[12:13] neg_lo:[0,1] neg_hi:[0,1]
	v_pk_add_f32 v[4:5], v[0:1], v[2:3] neg_lo:[0,1] neg_hi:[0,1]
	v_pk_add_f32 v[0:1], v[0:1], v[2:3]
	v_mov_b32_e32 v12, v14
	v_mov_b32_e32 v13, v11
	;; [unrolled: 1-line block ×7, first 2 shown]
	ds_write2_b64 v41, v[12:13], v[2:3] offset0:126 offset1:189
	ds_write2_b64 v24, v[0:1], v[10:11] offset0:124 offset1:187
	ds_write_b64 v41, v[22:23] offset:3024
	s_waitcnt lgkmcnt(0)
	; wave barrier
	s_waitcnt lgkmcnt(0)
	s_and_b64 exec, exec, vcc
	s_cbranch_execz .LBB0_15
; %bb.14:
	global_load_dwordx2 v[8:9], v41, s[8:9]
	global_load_dwordx2 v[10:11], v41, s[8:9] offset:392
	global_load_dwordx2 v[12:13], v41, s[8:9] offset:784
	;; [unrolled: 1-line block ×4, first 2 shown]
	ds_read_b64 v[18:19], v41
	ds_read2_b64 v[0:3], v41 offset0:49 offset1:98
	ds_read2_b64 v[4:7], v41 offset0:147 offset1:196
	global_load_dwordx2 v[28:29], v41, s[8:9] offset:1960
	global_load_dwordx2 v[30:31], v41, s[8:9] offset:2352
	;; [unrolled: 1-line block ×4, first 2 shown]
	v_mad_u64_u32 v[22:23], s[4:5], s2, v40, 0
	v_mad_u64_u32 v[26:27], s[6:7], s0, v44, 0
	v_mov_b32_e32 v36, v23
	v_mov_b32_e32 v38, v27
	v_mad_u64_u32 v[36:37], s[6:7], s3, v40, v[36:37]
	v_mov_b32_e32 v20, s12
	v_mov_b32_e32 v21, s13
	;; [unrolled: 3-line block ×3, first 2 shown]
	v_lshl_add_u64 v[20:21], v[22:23], 3, v[20:21]
	v_mov_b32_e32 v25, 0x188
	v_lshl_add_u64 v[20:21], v[26:27], 3, v[20:21]
	s_mul_i32 s2, s1, 0x188
	v_mad_u64_u32 v[22:23], s[6:7], s0, v25, v[20:21]
	s_mov_b32 s4, 0x5bb804a5
	v_add_u32_e32 v23, s2, v23
	s_mov_b32 s5, 0x3f629372
	v_mad_u64_u32 v[26:27], s[6:7], s0, v25, v[22:23]
	v_add_u32_e32 v27, s2, v27
	v_mad_u64_u32 v[36:37], s[6:7], s0, v25, v[26:27]
	v_add_u32_e32 v37, s2, v37
	s_waitcnt vmcnt(8) lgkmcnt(2)
	v_mul_f32_e32 v38, v19, v9
	v_mul_f32_e32 v9, v18, v9
	s_waitcnt vmcnt(7) lgkmcnt(1)
	v_mul_f32_e32 v39, v1, v11
	v_mul_f32_e32 v11, v0, v11
	s_waitcnt vmcnt(6)
	v_mul_f32_e32 v40, v3, v13
	v_mul_f32_e32 v13, v2, v13
	s_waitcnt vmcnt(5) lgkmcnt(0)
	v_mul_f32_e32 v42, v5, v15
	v_mul_f32_e32 v15, v4, v15
	v_fmac_f32_e32 v38, v18, v8
	v_fma_f32 v8, v8, v19, -v9
	v_fmac_f32_e32 v39, v0, v10
	v_fma_f32 v9, v10, v1, -v11
	;; [unrolled: 2-line block ×4, first 2 shown]
	v_cvt_f64_f32_e32 v[0:1], v38
	v_cvt_f64_f32_e32 v[2:3], v8
	s_waitcnt vmcnt(4)
	v_mul_f32_e32 v43, v7, v17
	v_cvt_f64_f32_e32 v[4:5], v39
	v_cvt_f64_f32_e32 v[8:9], v9
	;; [unrolled: 1-line block ×6, first 2 shown]
	v_mul_f64 v[0:1], v[0:1], s[4:5]
	v_mul_f64 v[2:3], v[2:3], s[4:5]
	;; [unrolled: 1-line block ×8, first 2 shown]
	v_cvt_f32_f64_e32 v0, v[0:1]
	v_cvt_f32_f64_e32 v1, v[2:3]
	v_fmac_f32_e32 v43, v6, v16
	v_cvt_f32_f64_e32 v2, v[4:5]
	v_cvt_f32_f64_e32 v3, v[8:9]
	;; [unrolled: 1-line block ×6, first 2 shown]
	global_store_dwordx2 v[20:21], v[0:1], off
	global_store_dwordx2 v[22:23], v[2:3], off
	;; [unrolled: 1-line block ×4, first 2 shown]
	v_cvt_f64_f32_e32 v[0:1], v43
	v_mul_f64 v[0:1], v[0:1], s[4:5]
	v_cvt_f32_f64_e32 v4, v[0:1]
	v_mul_f32_e32 v0, v6, v17
	v_fma_f32 v0, v16, v7, -v0
	v_cvt_f64_f32_e32 v[0:1], v0
	v_mul_f64 v[0:1], v[0:1], s[4:5]
	v_cvt_f32_f64_e32 v5, v[0:1]
	ds_read2_b64 v[0:3], v24 offset0:117 offset1:166
	v_mad_u64_u32 v[6:7], s[6:7], s0, v25, v[36:37]
	v_add_u32_e32 v7, s2, v7
	global_store_dwordx2 v[6:7], v[4:5], off
	s_waitcnt vmcnt(8) lgkmcnt(0)
	v_mul_f32_e32 v4, v1, v29
	v_fmac_f32_e32 v4, v0, v28
	v_mul_f32_e32 v0, v0, v29
	v_fma_f32 v0, v28, v1, -v0
	v_cvt_f64_f32_e32 v[4:5], v4
	v_cvt_f64_f32_e32 v[0:1], v0
	v_mul_f64 v[4:5], v[4:5], s[4:5]
	v_mul_f64 v[0:1], v[0:1], s[4:5]
	v_cvt_f32_f64_e32 v4, v[4:5]
	v_cvt_f32_f64_e32 v5, v[0:1]
	s_waitcnt vmcnt(7)
	v_mul_f32_e32 v0, v3, v31
	v_fmac_f32_e32 v0, v2, v30
	v_mad_u64_u32 v[6:7], s[6:7], s0, v25, v[6:7]
	v_cvt_f64_f32_e32 v[0:1], v0
	v_add_u32_e32 v7, s2, v7
	v_mul_f64 v[0:1], v[0:1], s[4:5]
	global_store_dwordx2 v[6:7], v[4:5], off
	v_cvt_f32_f64_e32 v4, v[0:1]
	v_mul_f32_e32 v0, v2, v31
	v_fma_f32 v0, v30, v3, -v0
	v_cvt_f64_f32_e32 v[0:1], v0
	v_mul_f64 v[0:1], v[0:1], s[4:5]
	v_cvt_f32_f64_e32 v5, v[0:1]
	v_add_u32_e32 v0, 0x800, v41
	ds_read2_b64 v[0:3], v0 offset0:87 offset1:136
	v_mad_u64_u32 v[6:7], s[6:7], s0, v25, v[6:7]
	v_add_u32_e32 v7, s2, v7
	global_store_dwordx2 v[6:7], v[4:5], off
	s_waitcnt vmcnt(8) lgkmcnt(0)
	v_mul_f32_e32 v4, v1, v33
	v_fmac_f32_e32 v4, v0, v32
	v_mul_f32_e32 v0, v0, v33
	v_fma_f32 v0, v32, v1, -v0
	v_cvt_f64_f32_e32 v[4:5], v4
	v_cvt_f64_f32_e32 v[0:1], v0
	v_mul_f64 v[4:5], v[4:5], s[4:5]
	v_mul_f64 v[0:1], v[0:1], s[4:5]
	v_cvt_f32_f64_e32 v4, v[4:5]
	v_cvt_f32_f64_e32 v5, v[0:1]
	v_mad_u64_u32 v[0:1], s[6:7], s0, v25, v[6:7]
	v_add_u32_e32 v1, s2, v1
	global_store_dwordx2 v[0:1], v[4:5], off
	s_waitcnt vmcnt(8)
	v_mul_f32_e32 v4, v3, v35
	v_fmac_f32_e32 v4, v2, v34
	v_mul_f32_e32 v2, v2, v35
	v_fma_f32 v2, v34, v3, -v2
	v_cvt_f64_f32_e32 v[4:5], v4
	v_cvt_f64_f32_e32 v[2:3], v2
	v_mul_f64 v[4:5], v[4:5], s[4:5]
	v_mul_f64 v[2:3], v[2:3], s[4:5]
	v_mad_u64_u32 v[0:1], s[0:1], s0, v25, v[0:1]
	v_cvt_f32_f64_e32 v4, v[4:5]
	v_cvt_f32_f64_e32 v5, v[2:3]
	v_add_u32_e32 v1, s2, v1
	global_store_dwordx2 v[0:1], v[4:5], off
.LBB0_15:
	s_endpgm
	.section	.rodata,"a",@progbits
	.p2align	6, 0x0
	.amdhsa_kernel bluestein_single_back_len441_dim1_sp_op_CI_CI
		.amdhsa_group_segment_fixed_size 3528
		.amdhsa_private_segment_fixed_size 0
		.amdhsa_kernarg_size 104
		.amdhsa_user_sgpr_count 2
		.amdhsa_user_sgpr_dispatch_ptr 0
		.amdhsa_user_sgpr_queue_ptr 0
		.amdhsa_user_sgpr_kernarg_segment_ptr 1
		.amdhsa_user_sgpr_dispatch_id 0
		.amdhsa_user_sgpr_kernarg_preload_length 0
		.amdhsa_user_sgpr_kernarg_preload_offset 0
		.amdhsa_user_sgpr_private_segment_size 0
		.amdhsa_uses_dynamic_stack 0
		.amdhsa_enable_private_segment 0
		.amdhsa_system_sgpr_workgroup_id_x 1
		.amdhsa_system_sgpr_workgroup_id_y 0
		.amdhsa_system_sgpr_workgroup_id_z 0
		.amdhsa_system_sgpr_workgroup_info 0
		.amdhsa_system_vgpr_workitem_id 0
		.amdhsa_next_free_vgpr 84
		.amdhsa_next_free_sgpr 24
		.amdhsa_accum_offset 84
		.amdhsa_reserve_vcc 1
		.amdhsa_float_round_mode_32 0
		.amdhsa_float_round_mode_16_64 0
		.amdhsa_float_denorm_mode_32 3
		.amdhsa_float_denorm_mode_16_64 3
		.amdhsa_dx10_clamp 1
		.amdhsa_ieee_mode 1
		.amdhsa_fp16_overflow 0
		.amdhsa_tg_split 0
		.amdhsa_exception_fp_ieee_invalid_op 0
		.amdhsa_exception_fp_denorm_src 0
		.amdhsa_exception_fp_ieee_div_zero 0
		.amdhsa_exception_fp_ieee_overflow 0
		.amdhsa_exception_fp_ieee_underflow 0
		.amdhsa_exception_fp_ieee_inexact 0
		.amdhsa_exception_int_div_zero 0
	.end_amdhsa_kernel
	.text
.Lfunc_end0:
	.size	bluestein_single_back_len441_dim1_sp_op_CI_CI, .Lfunc_end0-bluestein_single_back_len441_dim1_sp_op_CI_CI
                                        ; -- End function
	.section	.AMDGPU.csdata,"",@progbits
; Kernel info:
; codeLenInByte = 7028
; NumSgprs: 30
; NumVgprs: 84
; NumAgprs: 0
; TotalNumVgprs: 84
; ScratchSize: 0
; MemoryBound: 0
; FloatMode: 240
; IeeeMode: 1
; LDSByteSize: 3528 bytes/workgroup (compile time only)
; SGPRBlocks: 3
; VGPRBlocks: 10
; NumSGPRsForWavesPerEU: 30
; NumVGPRsForWavesPerEU: 84
; AccumOffset: 84
; Occupancy: 5
; WaveLimiterHint : 1
; COMPUTE_PGM_RSRC2:SCRATCH_EN: 0
; COMPUTE_PGM_RSRC2:USER_SGPR: 2
; COMPUTE_PGM_RSRC2:TRAP_HANDLER: 0
; COMPUTE_PGM_RSRC2:TGID_X_EN: 1
; COMPUTE_PGM_RSRC2:TGID_Y_EN: 0
; COMPUTE_PGM_RSRC2:TGID_Z_EN: 0
; COMPUTE_PGM_RSRC2:TIDIG_COMP_CNT: 0
; COMPUTE_PGM_RSRC3_GFX90A:ACCUM_OFFSET: 20
; COMPUTE_PGM_RSRC3_GFX90A:TG_SPLIT: 0
	.text
	.p2alignl 6, 3212836864
	.fill 256, 4, 3212836864
	.type	__hip_cuid_9c6ba3e2f3cbd62d,@object ; @__hip_cuid_9c6ba3e2f3cbd62d
	.section	.bss,"aw",@nobits
	.globl	__hip_cuid_9c6ba3e2f3cbd62d
__hip_cuid_9c6ba3e2f3cbd62d:
	.byte	0                               ; 0x0
	.size	__hip_cuid_9c6ba3e2f3cbd62d, 1

	.ident	"AMD clang version 19.0.0git (https://github.com/RadeonOpenCompute/llvm-project roc-6.4.0 25133 c7fe45cf4b819c5991fe208aaa96edf142730f1d)"
	.section	".note.GNU-stack","",@progbits
	.addrsig
	.addrsig_sym __hip_cuid_9c6ba3e2f3cbd62d
	.amdgpu_metadata
---
amdhsa.kernels:
  - .agpr_count:     0
    .args:
      - .actual_access:  read_only
        .address_space:  global
        .offset:         0
        .size:           8
        .value_kind:     global_buffer
      - .actual_access:  read_only
        .address_space:  global
        .offset:         8
        .size:           8
        .value_kind:     global_buffer
      - .actual_access:  read_only
        .address_space:  global
        .offset:         16
        .size:           8
        .value_kind:     global_buffer
      - .actual_access:  read_only
        .address_space:  global
        .offset:         24
        .size:           8
        .value_kind:     global_buffer
      - .actual_access:  read_only
        .address_space:  global
        .offset:         32
        .size:           8
        .value_kind:     global_buffer
      - .offset:         40
        .size:           8
        .value_kind:     by_value
      - .address_space:  global
        .offset:         48
        .size:           8
        .value_kind:     global_buffer
      - .address_space:  global
        .offset:         56
        .size:           8
        .value_kind:     global_buffer
      - .address_space:  global
        .offset:         64
        .size:           8
        .value_kind:     global_buffer
      - .address_space:  global
        .offset:         72
        .size:           8
        .value_kind:     global_buffer
      - .offset:         80
        .size:           4
        .value_kind:     by_value
      - .address_space:  global
        .offset:         88
        .size:           8
        .value_kind:     global_buffer
      - .address_space:  global
        .offset:         96
        .size:           8
        .value_kind:     global_buffer
    .group_segment_fixed_size: 3528
    .kernarg_segment_align: 8
    .kernarg_segment_size: 104
    .language:       OpenCL C
    .language_version:
      - 2
      - 0
    .max_flat_workgroup_size: 63
    .name:           bluestein_single_back_len441_dim1_sp_op_CI_CI
    .private_segment_fixed_size: 0
    .sgpr_count:     30
    .sgpr_spill_count: 0
    .symbol:         bluestein_single_back_len441_dim1_sp_op_CI_CI.kd
    .uniform_work_group_size: 1
    .uses_dynamic_stack: false
    .vgpr_count:     84
    .vgpr_spill_count: 0
    .wavefront_size: 64
amdhsa.target:   amdgcn-amd-amdhsa--gfx950
amdhsa.version:
  - 1
  - 2
...

	.end_amdgpu_metadata
